;; amdgpu-corpus repo=ROCm/rocFFT kind=compiled arch=gfx1201 opt=O3
	.text
	.amdgcn_target "amdgcn-amd-amdhsa--gfx1201"
	.amdhsa_code_object_version 6
	.protected	fft_rtc_back_len693_factors_11_7_9_wgs_99_tpt_99_halfLds_half_ip_CI_sbrr_dirReg ; -- Begin function fft_rtc_back_len693_factors_11_7_9_wgs_99_tpt_99_halfLds_half_ip_CI_sbrr_dirReg
	.globl	fft_rtc_back_len693_factors_11_7_9_wgs_99_tpt_99_halfLds_half_ip_CI_sbrr_dirReg
	.p2align	8
	.type	fft_rtc_back_len693_factors_11_7_9_wgs_99_tpt_99_halfLds_half_ip_CI_sbrr_dirReg,@function
fft_rtc_back_len693_factors_11_7_9_wgs_99_tpt_99_halfLds_half_ip_CI_sbrr_dirReg: ; @fft_rtc_back_len693_factors_11_7_9_wgs_99_tpt_99_halfLds_half_ip_CI_sbrr_dirReg
; %bb.0:
	s_clause 0x2
	s_load_b64 s[12:13], s[0:1], 0x18
	s_load_b128 s[4:7], s[0:1], 0x0
	s_load_b64 s[10:11], s[0:1], 0x50
	v_mul_u32_u24_e32 v1, 0x296, v0
	v_mov_b32_e32 v3, 0
	s_delay_alu instid0(VALU_DEP_2) | instskip(NEXT) | instid1(VALU_DEP_1)
	v_lshrrev_b32_e32 v1, 16, v1
	v_add_nc_u32_e32 v5, ttmp9, v1
	v_mov_b32_e32 v1, 0
	v_mov_b32_e32 v2, 0
	;; [unrolled: 1-line block ×3, first 2 shown]
	s_wait_kmcnt 0x0
	s_load_b64 s[8:9], s[12:13], 0x0
	v_cmp_lt_u64_e64 s2, s[6:7], 2
	s_delay_alu instid0(VALU_DEP_1)
	s_and_b32 vcc_lo, exec_lo, s2
	s_cbranch_vccnz .LBB0_8
; %bb.1:
	s_load_b64 s[2:3], s[0:1], 0x10
	v_mov_b32_e32 v1, 0
	v_mov_b32_e32 v2, 0
	s_add_nc_u64 s[14:15], s[12:13], 8
	s_mov_b64 s[16:17], 1
	s_wait_kmcnt 0x0
	s_add_nc_u64 s[18:19], s[2:3], 8
	s_mov_b32 s3, 0
.LBB0_2:                                ; =>This Inner Loop Header: Depth=1
	s_load_b64 s[20:21], s[18:19], 0x0
                                        ; implicit-def: $vgpr7_vgpr8
	s_mov_b32 s2, exec_lo
	s_wait_kmcnt 0x0
	v_or_b32_e32 v4, s21, v6
	s_delay_alu instid0(VALU_DEP_1)
	v_cmpx_ne_u64_e32 0, v[3:4]
	s_wait_alu 0xfffe
	s_xor_b32 s22, exec_lo, s2
	s_cbranch_execz .LBB0_4
; %bb.3:                                ;   in Loop: Header=BB0_2 Depth=1
	s_cvt_f32_u32 s2, s20
	s_cvt_f32_u32 s23, s21
	s_sub_nc_u64 s[26:27], 0, s[20:21]
	s_wait_alu 0xfffe
	s_delay_alu instid0(SALU_CYCLE_1) | instskip(SKIP_1) | instid1(SALU_CYCLE_2)
	s_fmamk_f32 s2, s23, 0x4f800000, s2
	s_wait_alu 0xfffe
	v_s_rcp_f32 s2, s2
	s_delay_alu instid0(TRANS32_DEP_1) | instskip(SKIP_1) | instid1(SALU_CYCLE_2)
	s_mul_f32 s2, s2, 0x5f7ffffc
	s_wait_alu 0xfffe
	s_mul_f32 s23, s2, 0x2f800000
	s_wait_alu 0xfffe
	s_delay_alu instid0(SALU_CYCLE_2) | instskip(SKIP_1) | instid1(SALU_CYCLE_2)
	s_trunc_f32 s23, s23
	s_wait_alu 0xfffe
	s_fmamk_f32 s2, s23, 0xcf800000, s2
	s_cvt_u32_f32 s25, s23
	s_wait_alu 0xfffe
	s_delay_alu instid0(SALU_CYCLE_1) | instskip(SKIP_1) | instid1(SALU_CYCLE_2)
	s_cvt_u32_f32 s24, s2
	s_wait_alu 0xfffe
	s_mul_u64 s[28:29], s[26:27], s[24:25]
	s_wait_alu 0xfffe
	s_mul_hi_u32 s31, s24, s29
	s_mul_i32 s30, s24, s29
	s_mul_hi_u32 s2, s24, s28
	s_mul_i32 s33, s25, s28
	s_wait_alu 0xfffe
	s_add_nc_u64 s[30:31], s[2:3], s[30:31]
	s_mul_hi_u32 s23, s25, s28
	s_mul_hi_u32 s34, s25, s29
	s_add_co_u32 s2, s30, s33
	s_wait_alu 0xfffe
	s_add_co_ci_u32 s2, s31, s23
	s_mul_i32 s28, s25, s29
	s_add_co_ci_u32 s29, s34, 0
	s_wait_alu 0xfffe
	s_add_nc_u64 s[28:29], s[2:3], s[28:29]
	s_wait_alu 0xfffe
	v_add_co_u32 v4, s2, s24, s28
	s_delay_alu instid0(VALU_DEP_1) | instskip(SKIP_1) | instid1(VALU_DEP_1)
	s_cmp_lg_u32 s2, 0
	s_add_co_ci_u32 s25, s25, s29
	v_readfirstlane_b32 s24, v4
	s_wait_alu 0xfffe
	s_delay_alu instid0(VALU_DEP_1)
	s_mul_u64 s[26:27], s[26:27], s[24:25]
	s_wait_alu 0xfffe
	s_mul_hi_u32 s29, s24, s27
	s_mul_i32 s28, s24, s27
	s_mul_hi_u32 s2, s24, s26
	s_mul_i32 s30, s25, s26
	s_wait_alu 0xfffe
	s_add_nc_u64 s[28:29], s[2:3], s[28:29]
	s_mul_hi_u32 s23, s25, s26
	s_mul_hi_u32 s24, s25, s27
	s_wait_alu 0xfffe
	s_add_co_u32 s2, s28, s30
	s_add_co_ci_u32 s2, s29, s23
	s_mul_i32 s26, s25, s27
	s_add_co_ci_u32 s27, s24, 0
	s_wait_alu 0xfffe
	s_add_nc_u64 s[26:27], s[2:3], s[26:27]
	s_wait_alu 0xfffe
	v_add_co_u32 v4, s2, v4, s26
	s_delay_alu instid0(VALU_DEP_1) | instskip(SKIP_1) | instid1(VALU_DEP_1)
	s_cmp_lg_u32 s2, 0
	s_add_co_ci_u32 s2, s25, s27
	v_mul_hi_u32 v13, v5, v4
	s_wait_alu 0xfffe
	v_mad_co_u64_u32 v[7:8], null, v5, s2, 0
	v_mad_co_u64_u32 v[9:10], null, v6, v4, 0
	;; [unrolled: 1-line block ×3, first 2 shown]
	s_delay_alu instid0(VALU_DEP_3) | instskip(SKIP_1) | instid1(VALU_DEP_4)
	v_add_co_u32 v4, vcc_lo, v13, v7
	s_wait_alu 0xfffd
	v_add_co_ci_u32_e32 v7, vcc_lo, 0, v8, vcc_lo
	s_delay_alu instid0(VALU_DEP_2) | instskip(SKIP_1) | instid1(VALU_DEP_2)
	v_add_co_u32 v4, vcc_lo, v4, v9
	s_wait_alu 0xfffd
	v_add_co_ci_u32_e32 v4, vcc_lo, v7, v10, vcc_lo
	s_wait_alu 0xfffd
	v_add_co_ci_u32_e32 v7, vcc_lo, 0, v12, vcc_lo
	s_delay_alu instid0(VALU_DEP_2) | instskip(SKIP_1) | instid1(VALU_DEP_2)
	v_add_co_u32 v4, vcc_lo, v4, v11
	s_wait_alu 0xfffd
	v_add_co_ci_u32_e32 v9, vcc_lo, 0, v7, vcc_lo
	s_delay_alu instid0(VALU_DEP_2) | instskip(SKIP_1) | instid1(VALU_DEP_3)
	v_mul_lo_u32 v10, s21, v4
	v_mad_co_u64_u32 v[7:8], null, s20, v4, 0
	v_mul_lo_u32 v11, s20, v9
	s_delay_alu instid0(VALU_DEP_2) | instskip(NEXT) | instid1(VALU_DEP_2)
	v_sub_co_u32 v7, vcc_lo, v5, v7
	v_add3_u32 v8, v8, v11, v10
	s_delay_alu instid0(VALU_DEP_1) | instskip(SKIP_1) | instid1(VALU_DEP_1)
	v_sub_nc_u32_e32 v10, v6, v8
	s_wait_alu 0xfffd
	v_subrev_co_ci_u32_e64 v10, s2, s21, v10, vcc_lo
	v_add_co_u32 v11, s2, v4, 2
	s_wait_alu 0xf1ff
	v_add_co_ci_u32_e64 v12, s2, 0, v9, s2
	v_sub_co_u32 v13, s2, v7, s20
	v_sub_co_ci_u32_e32 v8, vcc_lo, v6, v8, vcc_lo
	s_wait_alu 0xf1ff
	v_subrev_co_ci_u32_e64 v10, s2, 0, v10, s2
	s_delay_alu instid0(VALU_DEP_3) | instskip(NEXT) | instid1(VALU_DEP_3)
	v_cmp_le_u32_e32 vcc_lo, s20, v13
	v_cmp_eq_u32_e64 s2, s21, v8
	s_wait_alu 0xfffd
	v_cndmask_b32_e64 v13, 0, -1, vcc_lo
	v_cmp_le_u32_e32 vcc_lo, s21, v10
	s_wait_alu 0xfffd
	v_cndmask_b32_e64 v14, 0, -1, vcc_lo
	v_cmp_le_u32_e32 vcc_lo, s20, v7
	;; [unrolled: 3-line block ×3, first 2 shown]
	s_wait_alu 0xfffd
	v_cndmask_b32_e64 v15, 0, -1, vcc_lo
	v_cmp_eq_u32_e32 vcc_lo, s21, v10
	s_wait_alu 0xf1ff
	s_delay_alu instid0(VALU_DEP_2)
	v_cndmask_b32_e64 v7, v15, v7, s2
	s_wait_alu 0xfffd
	v_cndmask_b32_e32 v10, v14, v13, vcc_lo
	v_add_co_u32 v13, vcc_lo, v4, 1
	s_wait_alu 0xfffd
	v_add_co_ci_u32_e32 v14, vcc_lo, 0, v9, vcc_lo
	s_delay_alu instid0(VALU_DEP_3) | instskip(SKIP_2) | instid1(VALU_DEP_3)
	v_cmp_ne_u32_e32 vcc_lo, 0, v10
	s_wait_alu 0xfffd
	v_cndmask_b32_e32 v10, v13, v11, vcc_lo
	v_cndmask_b32_e32 v8, v14, v12, vcc_lo
	v_cmp_ne_u32_e32 vcc_lo, 0, v7
	s_wait_alu 0xfffd
	s_delay_alu instid0(VALU_DEP_2)
	v_dual_cndmask_b32 v7, v4, v10 :: v_dual_cndmask_b32 v8, v9, v8
.LBB0_4:                                ;   in Loop: Header=BB0_2 Depth=1
	s_wait_alu 0xfffe
	s_and_not1_saveexec_b32 s2, s22
	s_cbranch_execz .LBB0_6
; %bb.5:                                ;   in Loop: Header=BB0_2 Depth=1
	v_cvt_f32_u32_e32 v4, s20
	s_sub_co_i32 s22, 0, s20
	s_delay_alu instid0(VALU_DEP_1) | instskip(NEXT) | instid1(TRANS32_DEP_1)
	v_rcp_iflag_f32_e32 v4, v4
	v_mul_f32_e32 v4, 0x4f7ffffe, v4
	s_delay_alu instid0(VALU_DEP_1) | instskip(SKIP_1) | instid1(VALU_DEP_1)
	v_cvt_u32_f32_e32 v4, v4
	s_wait_alu 0xfffe
	v_mul_lo_u32 v7, s22, v4
	s_delay_alu instid0(VALU_DEP_1) | instskip(NEXT) | instid1(VALU_DEP_1)
	v_mul_hi_u32 v7, v4, v7
	v_add_nc_u32_e32 v4, v4, v7
	s_delay_alu instid0(VALU_DEP_1) | instskip(NEXT) | instid1(VALU_DEP_1)
	v_mul_hi_u32 v4, v5, v4
	v_mul_lo_u32 v7, v4, s20
	v_add_nc_u32_e32 v8, 1, v4
	s_delay_alu instid0(VALU_DEP_2) | instskip(NEXT) | instid1(VALU_DEP_1)
	v_sub_nc_u32_e32 v7, v5, v7
	v_subrev_nc_u32_e32 v9, s20, v7
	v_cmp_le_u32_e32 vcc_lo, s20, v7
	s_wait_alu 0xfffd
	s_delay_alu instid0(VALU_DEP_2) | instskip(NEXT) | instid1(VALU_DEP_1)
	v_dual_cndmask_b32 v7, v7, v9 :: v_dual_cndmask_b32 v4, v4, v8
	v_cmp_le_u32_e32 vcc_lo, s20, v7
	s_delay_alu instid0(VALU_DEP_2) | instskip(SKIP_1) | instid1(VALU_DEP_1)
	v_add_nc_u32_e32 v8, 1, v4
	s_wait_alu 0xfffd
	v_dual_cndmask_b32 v7, v4, v8 :: v_dual_mov_b32 v8, v3
.LBB0_6:                                ;   in Loop: Header=BB0_2 Depth=1
	s_wait_alu 0xfffe
	s_or_b32 exec_lo, exec_lo, s2
	s_load_b64 s[22:23], s[14:15], 0x0
	s_delay_alu instid0(VALU_DEP_1)
	v_mul_lo_u32 v4, v8, s20
	v_mul_lo_u32 v11, v7, s21
	v_mad_co_u64_u32 v[9:10], null, v7, s20, 0
	s_add_nc_u64 s[16:17], s[16:17], 1
	s_add_nc_u64 s[14:15], s[14:15], 8
	s_wait_alu 0xfffe
	v_cmp_ge_u64_e64 s2, s[16:17], s[6:7]
	s_add_nc_u64 s[18:19], s[18:19], 8
	s_delay_alu instid0(VALU_DEP_2) | instskip(NEXT) | instid1(VALU_DEP_3)
	v_add3_u32 v4, v10, v11, v4
	v_sub_co_u32 v5, vcc_lo, v5, v9
	s_wait_alu 0xfffd
	s_delay_alu instid0(VALU_DEP_2) | instskip(SKIP_3) | instid1(VALU_DEP_2)
	v_sub_co_ci_u32_e32 v4, vcc_lo, v6, v4, vcc_lo
	s_and_b32 vcc_lo, exec_lo, s2
	s_wait_kmcnt 0x0
	v_mul_lo_u32 v6, s23, v5
	v_mul_lo_u32 v4, s22, v4
	v_mad_co_u64_u32 v[1:2], null, s22, v5, v[1:2]
	s_delay_alu instid0(VALU_DEP_1)
	v_add3_u32 v2, v6, v2, v4
	s_wait_alu 0xfffe
	s_cbranch_vccnz .LBB0_9
; %bb.7:                                ;   in Loop: Header=BB0_2 Depth=1
	v_dual_mov_b32 v5, v7 :: v_dual_mov_b32 v6, v8
	s_branch .LBB0_2
.LBB0_8:
	v_dual_mov_b32 v8, v6 :: v_dual_mov_b32 v7, v5
.LBB0_9:
	s_lshl_b64 s[2:3], s[6:7], 3
	v_mul_hi_u32 v3, 0x295fad5, v0
	s_wait_alu 0xfffe
	s_add_nc_u64 s[2:3], s[12:13], s[2:3]
                                        ; implicit-def: $vgpr17
                                        ; implicit-def: $vgpr20
                                        ; implicit-def: $vgpr15
                                        ; implicit-def: $vgpr21
                                        ; implicit-def: $vgpr14
                                        ; implicit-def: $vgpr16
                                        ; implicit-def: $vgpr12
                                        ; implicit-def: $vgpr18
                                        ; implicit-def: $vgpr11
                                        ; implicit-def: $vgpr13
                                        ; implicit-def: $vgpr10
                                        ; implicit-def: $vgpr19
                                        ; implicit-def: $vgpr9
                                        ; implicit-def: $vgpr22
                                        ; implicit-def: $vgpr23
                                        ; implicit-def: $vgpr25
                                        ; implicit-def: $vgpr24
	s_load_b64 s[2:3], s[2:3], 0x0
	s_load_b64 s[0:1], s[0:1], 0x20
	s_delay_alu instid0(VALU_DEP_1) | instskip(NEXT) | instid1(VALU_DEP_1)
	v_mul_u32_u24_e32 v3, 0x63, v3
	v_sub_nc_u32_e32 v5, v0, v3
	v_mov_b32_e32 v3, 0
	s_wait_kmcnt 0x0
	v_mul_lo_u32 v4, s2, v8
	v_mul_lo_u32 v6, s3, v7
	v_mad_co_u64_u32 v[1:2], null, s2, v7, v[1:2]
	v_cmp_gt_u64_e32 vcc_lo, s[0:1], v[7:8]
	v_cmp_gt_u32_e64 s0, 63, v5
                                        ; implicit-def: $vgpr8
                                        ; implicit-def: $vgpr7
	s_delay_alu instid0(VALU_DEP_3) | instskip(SKIP_1) | instid1(VALU_DEP_3)
	v_add3_u32 v2, v6, v2, v4
	v_mov_b32_e32 v4, 0
	s_and_b32 s1, vcc_lo, s0
                                        ; implicit-def: $vgpr6
	s_delay_alu instid0(VALU_DEP_2)
	v_lshlrev_b64_e32 v[0:1], 2, v[1:2]
	s_wait_alu 0xfffe
	s_and_saveexec_b32 s2, s1
	s_cbranch_execz .LBB0_11
; %bb.10:
	v_add_nc_u32_e32 v10, 63, v5
	v_mad_co_u64_u32 v[2:3], null, s8, v5, 0
	v_add_nc_u32_e32 v18, 0x13b, v5
	v_add_nc_u32_e32 v20, 0x17a, v5
	s_delay_alu instid0(VALU_DEP_4)
	v_mad_co_u64_u32 v[6:7], null, s8, v10, 0
	v_add_nc_u32_e32 v13, 0x7e, v5
	v_add_nc_u32_e32 v22, 0x1b9, v5
	v_add_co_u32 v32, s1, s10, v0
	s_wait_alu 0xf1ff
	v_add_co_ci_u32_e64 v33, s1, s11, v1, s1
	v_mov_b32_e32 v4, v7
	v_add_nc_u32_e32 v30, 0x237, v5
	v_add_nc_u32_e32 v34, 0x276, v5
	;; [unrolled: 1-line block ×3, first 2 shown]
	s_delay_alu instid0(VALU_DEP_4) | instskip(SKIP_2) | instid1(VALU_DEP_3)
	v_mad_co_u64_u32 v[7:8], null, s9, v5, v[3:4]
	v_mad_co_u64_u32 v[8:9], null, s8, v13, 0
	v_add_nc_u32_e32 v15, 0xbd, v5
	v_mov_b32_e32 v3, v7
	v_mad_co_u64_u32 v[10:11], null, s9, v10, v[4:5]
	s_delay_alu instid0(VALU_DEP_4) | instskip(NEXT) | instid1(VALU_DEP_4)
	v_mov_b32_e32 v4, v9
	v_mad_co_u64_u32 v[11:12], null, s8, v15, 0
	s_delay_alu instid0(VALU_DEP_4) | instskip(NEXT) | instid1(VALU_DEP_4)
	v_lshlrev_b64_e32 v[2:3], 2, v[2:3]
	v_mov_b32_e32 v7, v10
	s_delay_alu instid0(VALU_DEP_4) | instskip(SKIP_2) | instid1(VALU_DEP_4)
	v_mad_co_u64_u32 v[9:10], null, s9, v13, v[4:5]
	v_add_nc_u32_e32 v10, 0xfc, v5
	v_mov_b32_e32 v4, v12
	v_lshlrev_b64_e32 v[6:7], 2, v[6:7]
	v_add_co_u32 v2, s1, v32, v2
	s_delay_alu instid0(VALU_DEP_4) | instskip(NEXT) | instid1(VALU_DEP_4)
	v_mad_co_u64_u32 v[13:14], null, s8, v10, 0
	v_mad_co_u64_u32 v[15:16], null, s9, v15, v[4:5]
	;; [unrolled: 1-line block ×3, first 2 shown]
	v_lshlrev_b64_e32 v[8:9], 2, v[8:9]
	s_wait_alu 0xf1ff
	v_add_co_ci_u32_e64 v3, s1, v33, v3, s1
	v_mov_b32_e32 v4, v14
	v_mov_b32_e32 v12, v15
	v_add_co_u32 v6, s1, v32, v6
	s_wait_alu 0xf1ff
	v_add_co_ci_u32_e64 v7, s1, v33, v7, s1
	v_mad_co_u64_u32 v[14:15], null, s9, v10, v[4:5]
	v_mov_b32_e32 v4, v17
	v_lshlrev_b64_e32 v[10:11], 2, v[11:12]
	v_add_co_u32 v8, s1, v32, v8
	s_wait_alu 0xf1ff
	v_add_co_ci_u32_e64 v9, s1, v33, v9, s1
	v_mad_co_u64_u32 v[17:18], null, s9, v18, v[4:5]
	v_mad_co_u64_u32 v[18:19], null, s8, v20, 0
	v_lshlrev_b64_e32 v[12:13], 2, v[13:14]
	v_mad_co_u64_u32 v[14:15], null, s8, v22, 0
	v_add_co_u32 v10, s1, v32, v10
	s_wait_alu 0xf1ff
	v_add_co_ci_u32_e64 v11, s1, v33, v11, s1
	v_mov_b32_e32 v4, v19
	v_add_co_u32 v12, s1, v32, v12
	s_wait_alu 0xf1ff
	v_add_co_ci_u32_e64 v13, s1, v33, v13, s1
	s_delay_alu instid0(VALU_DEP_3) | instskip(SKIP_3) | instid1(VALU_DEP_2)
	v_mad_co_u64_u32 v[19:20], null, s9, v20, v[4:5]
	v_mad_co_u64_u32 v[20:21], null, s8, v25, 0
	v_mov_b32_e32 v4, v15
	v_lshlrev_b64_e32 v[15:16], 2, v[16:17]
	v_mad_co_u64_u32 v[22:23], null, s9, v22, v[4:5]
	s_delay_alu instid0(VALU_DEP_4) | instskip(SKIP_1) | instid1(VALU_DEP_4)
	v_mov_b32_e32 v4, v21
	v_mad_co_u64_u32 v[23:24], null, s8, v30, 0
	v_add_co_u32 v28, s1, v32, v15
	s_delay_alu instid0(VALU_DEP_3) | instskip(SKIP_1) | instid1(VALU_DEP_4)
	v_mad_co_u64_u32 v[25:26], null, s9, v25, v[4:5]
	v_mad_co_u64_u32 v[26:27], null, s8, v34, 0
	v_mov_b32_e32 v4, v24
	s_wait_alu 0xf1ff
	v_add_co_ci_u32_e64 v29, s1, v33, v16, s1
	v_lshlrev_b64_e32 v[16:17], 2, v[18:19]
	v_mov_b32_e32 v15, v22
	v_mad_co_u64_u32 v[18:19], null, s9, v30, v[4:5]
	v_dual_mov_b32 v4, v27 :: v_dual_mov_b32 v21, v25
	s_delay_alu instid0(VALU_DEP_4) | instskip(SKIP_2) | instid1(VALU_DEP_3)
	v_add_co_u32 v30, s1, v32, v16
	s_wait_alu 0xf1ff
	v_add_co_ci_u32_e64 v31, s1, v33, v17, s1
	v_mad_co_u64_u32 v[16:17], null, s9, v34, v[4:5]
	v_lshlrev_b64_e32 v[14:15], 2, v[14:15]
	v_lshlrev_b64_e32 v[19:20], 2, v[20:21]
	s_delay_alu instid0(VALU_DEP_3) | instskip(NEXT) | instid1(VALU_DEP_3)
	v_dual_mov_b32 v24, v18 :: v_dual_mov_b32 v27, v16
	v_add_co_u32 v14, s1, v32, v14
	s_wait_alu 0xf1ff
	s_delay_alu instid0(VALU_DEP_4) | instskip(NEXT) | instid1(VALU_DEP_3)
	v_add_co_ci_u32_e64 v15, s1, v33, v15, s1
	v_lshlrev_b64_e32 v[17:18], 2, v[23:24]
	v_add_co_u32 v23, s1, v32, v19
	s_wait_alu 0xf1ff
	v_add_co_ci_u32_e64 v24, s1, v33, v20, s1
	v_lshlrev_b64_e32 v[19:20], 2, v[26:27]
	s_delay_alu instid0(VALU_DEP_4) | instskip(SKIP_2) | instid1(VALU_DEP_3)
	v_add_co_u32 v25, s1, v32, v17
	s_wait_alu 0xf1ff
	v_add_co_ci_u32_e64 v26, s1, v33, v18, s1
	v_add_co_u32 v32, s1, v32, v19
	s_wait_alu 0xf1ff
	v_add_co_ci_u32_e64 v33, s1, v33, v20, s1
	s_clause 0xa
	global_load_b32 v3, v[2:3], off
	global_load_b32 v20, v[6:7], off
	global_load_b32 v21, v[8:9], off
	global_load_b32 v16, v[10:11], off
	global_load_b32 v18, v[12:13], off
	global_load_b32 v13, v[28:29], off
	global_load_b32 v19, v[30:31], off
	global_load_b32 v22, v[14:15], off
	global_load_b32 v23, v[23:24], off
	global_load_b32 v24, v[25:26], off
	global_load_b32 v25, v[32:33], off
	s_wait_loadcnt 0xa
	v_lshrrev_b32_e32 v4, 16, v3
	s_wait_loadcnt 0x9
	v_lshrrev_b32_e32 v17, 16, v20
	;; [unrolled: 2-line block ×11, first 2 shown]
.LBB0_11:
	s_wait_alu 0xfffe
	s_or_b32 exec_lo, exec_lo, s2
	s_delay_alu instid0(VALU_DEP_1)
	v_sub_f16_e32 v38, v17, v6
	v_add_f16_e32 v39, v20, v25
	v_sub_f16_e32 v31, v15, v7
	v_add_f16_e32 v40, v21, v24
	v_sub_f16_e32 v32, v14, v8
	v_pk_mul_f16 v30, 0xbbebba0c, v38 op_sel_hi:[1,0]
	v_add_f16_e32 v35, v16, v23
	v_pk_mul_f16 v26, 0x34823beb, v31 op_sel_hi:[1,0]
	v_sub_f16_e32 v33, v12, v9
	v_pk_mul_f16 v27, 0x3b47b853, v32 op_sel_hi:[1,0]
	v_pk_fma_f16 v2, 0xb08eb93d, v39, v30 op_sel_hi:[1,0,1] neg_lo:[0,0,1] neg_hi:[0,0,1]
	v_add_f16_e32 v36, v18, v22
	v_pk_fma_f16 v29, 0xbbadb08e, v40, v26 op_sel_hi:[1,0,1] neg_lo:[0,0,1] neg_hi:[0,0,1]
	v_pk_mul_f16 v28, 0xb853b482, v33 op_sel_hi:[1,0]
	v_pk_fma_f16 v41, 0x36a63abb, v35, v27 op_sel_hi:[1,0,1] neg_lo:[0,0,1] neg_hi:[0,0,1]
	v_pk_add_f16 v2, v3, v2 op_sel_hi:[0,1]
	v_sub_f16_e32 v34, v11, v10
	v_add_f16_e32 v37, v13, v19
	v_pk_fma_f16 v42, 0x3abbbbad, v36, v28 op_sel_hi:[1,0,1] neg_lo:[0,0,1] neg_hi:[0,0,1]
	s_delay_alu instid0(VALU_DEP_4) | instskip(NEXT) | instid1(VALU_DEP_4)
	v_pk_add_f16 v2, v2, v29
	v_pk_mul_f16 v29, 0xba0c3b47, v34 op_sel_hi:[1,0]
	s_delay_alu instid0(VALU_DEP_2) | instskip(NEXT) | instid1(VALU_DEP_2)
	v_pk_add_f16 v2, v41, v2
	v_pk_fma_f16 v41, 0xb93d36a6, v37, v29 op_sel_hi:[1,0,1] neg_lo:[0,0,1] neg_hi:[0,0,1]
	s_delay_alu instid0(VALU_DEP_2) | instskip(NEXT) | instid1(VALU_DEP_1)
	v_pk_add_f16 v2, v42, v2
	v_pk_add_f16 v2, v41, v2
	s_and_saveexec_b32 s1, s0
	s_cbranch_execz .LBB0_13
; %bb.12:
	v_pack_b32_f16 v41, v39, v39
	v_pk_mul_f16 v42, 0xb08eb93d, v39 op_sel_hi:[1,0]
	v_mul_f16_e32 v39, 0xbbad, v39
	v_pack_b32_f16 v45, v40, v40
	v_pk_mul_f16 v46, 0xbbadb08e, v40 op_sel_hi:[1,0]
	v_mul_f16_e32 v40, 0x3abb, v40
	v_pack_b32_f16 v43, v38, v38
	v_fmamk_f16 v54, v38, 0x3482, v39
	v_fmac_f16_e32 v39, 0xb482, v38
	v_perm_b32 v44, v3, v3, 0x5040100
	v_pack_b32_f16 v48, v35, v35
	v_pk_mul_f16 v49, 0x36a63abb, v35 op_sel_hi:[1,0]
	v_add_f16_e32 v38, v3, v54
	v_add_f16_e32 v54, v3, v20
	v_fmamk_f16 v57, v31, 0xb853, v40
	v_mul_f16_e32 v35, 0xb93d, v35
	v_add_f16_e32 v3, v3, v39
	v_fmac_f16_e32 v40, 0x3853, v31
	v_pack_b32_f16 v51, v36, v36
	v_pk_mul_f16 v52, 0x3abbbbad, v36 op_sel_hi:[1,0]
	v_add_f16_e32 v38, v38, v57
	v_fmamk_f16 v39, v32, 0x3a0c, v35
	v_mul_f16_e32 v36, 0x36a6, v36
	v_add_f16_e32 v3, v3, v40
	v_fmac_f16_e32 v35, 0xba0c, v32
	v_pack_b32_f16 v47, v31, v31
	v_add_f16_e32 v31, v54, v21
	v_pack_b32_f16 v50, v32, v32
	v_add_f16_e32 v32, v39, v38
	v_fmamk_f16 v38, v33, 0xbb47, v36
	v_add_f16_e32 v3, v35, v3
	v_fmac_f16_e32 v36, 0x3b47, v33
	v_add_f16_e32 v31, v31, v16
	v_pack_b32_f16 v55, v37, v37
	v_pk_mul_f16 v56, 0xb93d36a6, v37 op_sel_hi:[1,0]
	v_mul_f16_e32 v37, 0xb08e, v37
	v_add_f16_e32 v3, v36, v3
	v_pk_mul_f16 v36, 0xbb47b853, v43
	v_add_f16_e32 v31, v31, v18
	v_pack_b32_f16 v53, v33, v33
	v_pack_b32_f16 v33, v34, v34
	v_fmamk_f16 v35, v34, 0x3beb, v37
	v_fmac_f16_e32 v37, 0xbbeb, v34
	v_pk_mul_f16 v34, 0xba0cbb47, v47
	v_pk_fma_f16 v39, 0x36a63abb, v41, v36
	v_add_f16_e32 v31, v31, v13
	v_pk_add_f16 v30, v30, v42
	v_add_f16_e32 v32, v38, v32
	v_pk_mul_f16 v38, 0x3482bbeb, v50
	v_pk_add_f16 v39, v44, v39
	v_pk_fma_f16 v42, 0xb93d36a6, v45, v34
	v_pk_fma_f16 v36, 0x36a63abb, v41, v36 neg_lo:[0,0,1] neg_hi:[0,0,1]
	v_add_f16_e32 v31, v31, v19
	v_pk_add_f16 v30, v44, v30
	v_pk_add_f16 v26, v26, v46
	v_pk_mul_f16 v40, 0x3bebba0c, v53
	v_pk_add_f16 v39, v39, v42
	v_pk_fma_f16 v41, 0xbbadb08e, v48, v38
	v_pk_add_f16 v36, v44, v36
	v_pk_fma_f16 v34, 0xb93d36a6, v45, v34 neg_lo:[0,0,1] neg_hi:[0,0,1]
	v_add_f16_e32 v31, v31, v22
	v_pk_add_f16 v26, v30, v26
	v_pk_add_f16 v27, v27, v49
	v_pk_mul_f16 v33, 0x3853b482, v33
	v_pk_add_f16 v30, v41, v39
	v_pk_fma_f16 v39, 0xb08eb93d, v51, v40
	v_pk_add_f16 v34, v36, v34
	v_pk_fma_f16 v36, 0xbbadb08e, v48, v38 neg_lo:[0,0,1] neg_hi:[0,0,1]
	v_add_f16_e32 v31, v31, v23
	v_pk_add_f16 v26, v27, v26
	v_pk_add_f16 v27, v28, v52
	;; [unrolled: 1-line block ×3, first 2 shown]
	v_pk_fma_f16 v30, 0x3abbbbad, v55, v33
	v_pk_add_f16 v34, v36, v34
	v_pk_fma_f16 v36, 0xb08eb93d, v51, v40 neg_lo:[0,0,1] neg_hi:[0,0,1]
	v_pk_add_f16 v26, v27, v26
	v_pk_add_f16 v27, v29, v56
	v_add_f16_e32 v29, v31, v24
	v_pk_add_f16 v30, v30, v28
	v_pk_add_f16 v28, v36, v34
	v_pk_fma_f16 v31, 0x3abbbbad, v55, v33 neg_lo:[0,0,1] neg_hi:[0,0,1]
	v_pk_add_f16 v26, v27, v26
	v_add_f16_e32 v3, v37, v3
	v_add_f16_e32 v29, v25, v29
	v_mad_u32_u24 v33, v5, 22, 0
	v_pk_add_f16 v31, v31, v28
	v_perm_b32 v27, v26, v30, 0x7060302
	v_pack_b32_f16 v28, v26, v3
	v_pack_b32_f16 v26, v29, v30
	v_add_f16_e32 v29, v35, v32
	v_alignbit_b32 v3, v31, v31, 16
	ds_store_b96 v33, v[26:28]
	ds_store_b16 v33, v29 offset:12
	ds_store_b64 v33, v[2:3] offset:14
.LBB0_13:
	s_wait_alu 0xfffe
	s_or_b32 exec_lo, exec_lo, s1
	v_sub_f16_e32 v38, v20, v25
	v_add_f16_e32 v34, v17, v6
	v_sub_f16_e32 v36, v21, v24
	v_add_f16_e32 v33, v15, v7
	v_sub_f16_e32 v37, v16, v23
	v_pk_mul_f16 v25, 0xbbebba0c, v38 op_sel_hi:[1,0]
	v_sub_f16_e32 v24, v13, v19
	v_pk_mul_f16 v26, 0x34823beb, v36 op_sel_hi:[1,0]
	v_lshl_add_u32 v13, v5, 1, 0
	v_add_f16_e32 v32, v14, v8
	v_pk_fma_f16 v3, 0xb08eb93d, v34, v25 op_sel_hi:[1,0,1]
	v_sub_f16_e32 v35, v18, v22
	v_pk_fma_f16 v16, 0xbbadb08e, v33, v26 op_sel_hi:[1,0,1]
	global_wb scope:SCOPE_SE
	s_wait_dscnt 0x0
	v_pk_mul_f16 v28, 0x3b47b853, v37 op_sel_hi:[1,0]
	v_pk_add_f16 v3, v4, v3 op_sel_hi:[0,1]
	s_barrier_signal -1
	s_barrier_wait -1
	global_inv scope:SCOPE_SE
	v_add_f16_e32 v30, v12, v9
	v_pk_add_f16 v3, v3, v16
	ds_load_u16 v16, v13
	ds_load_u16 v23, v13 offset:198
	ds_load_u16 v22, v13 offset:396
	;; [unrolled: 1-line block ×6, first 2 shown]
	v_pk_mul_f16 v29, 0xb853b482, v35 op_sel_hi:[1,0]
	v_pk_fma_f16 v31, 0x36a63abb, v32, v28 op_sel_hi:[1,0,1]
	v_add_f16_e32 v27, v11, v10
	global_wb scope:SCOPE_SE
	s_wait_dscnt 0x0
	s_barrier_signal -1
	v_pk_fma_f16 v39, 0x3abbbbad, v30, v29 op_sel_hi:[1,0,1]
	v_pk_add_f16 v3, v31, v3
	v_pk_mul_f16 v31, 0xba0c3b47, v24 op_sel_hi:[1,0]
	s_barrier_wait -1
	global_inv scope:SCOPE_SE
	v_pk_add_f16 v3, v39, v3
	v_pk_fma_f16 v39, 0xb93d36a6, v27, v31 op_sel_hi:[1,0,1]
	s_delay_alu instid0(VALU_DEP_1)
	v_pk_add_f16 v3, v39, v3
	s_and_saveexec_b32 s1, s0
	s_cbranch_execz .LBB0_15
; %bb.14:
	v_add_f16_e32 v17, v4, v17
	v_pack_b32_f16 v39, v34, v34
	v_pack_b32_f16 v40, v38, v38
	;; [unrolled: 1-line block ×3, first 2 shown]
	v_pk_mul_f16 v48, 0xb08eb93d, v34 op_sel_hi:[1,0]
	v_add_f16_e32 v15, v17, v15
	v_pack_b32_f16 v17, v36, v36
	v_mul_f16_e32 v36, 0x3853, v36
	v_mul_f16_e32 v37, 0xba0c, v37
	v_perm_b32 v41, v4, v4, 0x5040100
	v_add_f16_e32 v14, v15, v14
	v_pack_b32_f16 v15, v35, v35
	v_mul_f16_e32 v35, 0x3b47, v35
	v_pack_b32_f16 v42, v33, v33
	v_pack_b32_f16 v43, v32, v32
	v_add_f16_e32 v12, v14, v12
	v_pk_mul_f16 v14, 0xbbadb08e, v33 op_sel_hi:[1,0]
	v_pk_mul_f16 v49, 0x36a63abb, v32 op_sel_hi:[1,0]
	v_pack_b32_f16 v45, v30, v30
	v_pack_b32_f16 v47, v24, v24
	v_add_f16_e32 v11, v12, v11
	v_mul_f16_e32 v12, 0xb482, v38
	v_pk_add_f16 v14, v14, v26 neg_lo:[0,1] neg_hi:[0,1]
	v_pk_mul_f16 v50, 0x3abbbbad, v30 op_sel_hi:[1,0]
	v_pack_b32_f16 v46, v27, v27
	v_add_f16_e32 v10, v11, v10
	v_fma_f16 v11, v34, 0xbbad, -v12
	v_fmac_f16_e32 v12, 0xbbad, v34
	v_fma_f16 v34, v33, 0x3abb, -v36
	v_fmac_f16_e32 v36, 0x3abb, v33
	v_add_f16_e32 v9, v10, v9
	v_add_f16_e32 v10, v4, v11
	v_fma_f16 v11, v32, 0xb93d, -v37
	v_add_f16_e32 v4, v4, v12
	v_fma_f16 v12, v30, 0x36a6, -v35
	v_add_f16_e32 v8, v9, v8
	v_add_f16_e32 v9, v10, v34
	v_pk_mul_f16 v10, 0xbb47b853, v40
	v_pk_mul_f16 v51, 0xb93d36a6, v27 op_sel_hi:[1,0]
	v_fmac_f16_e32 v37, 0xb93d, v32
	v_add_f16_e32 v7, v8, v7
	v_add_f16_e32 v8, v11, v9
	v_pk_fma_f16 v9, 0x36a63abb, v39, v10 neg_lo:[0,0,1] neg_hi:[0,0,1]
	v_pk_mul_f16 v11, 0xba0cbb47, v17
	v_pk_fma_f16 v10, 0x36a63abb, v39, v10
	v_add_f16_e32 v6, v6, v7
	v_add_f16_e32 v7, v12, v8
	v_pk_add_f16 v8, v41, v9
	v_pk_fma_f16 v9, 0xb93d36a6, v42, v11 neg_lo:[0,0,1] neg_hi:[0,0,1]
	v_pk_mul_f16 v12, 0x3482bbeb, v44
	v_pk_add_f16 v17, v48, v25 neg_lo:[0,1] neg_hi:[0,1]
	v_pk_add_f16 v10, v41, v10
	v_pk_fma_f16 v11, 0xb93d36a6, v42, v11
	v_pk_add_f16 v8, v8, v9
	v_pk_fma_f16 v9, 0xbbadb08e, v43, v12 neg_lo:[0,0,1] neg_hi:[0,0,1]
	v_pk_add_f16 v17, v41, v17
	v_add_f16_e32 v4, v4, v36
	v_pk_add_f16 v10, v10, v11
	v_pk_fma_f16 v11, 0xbbadb08e, v43, v12
	v_pk_add_f16 v8, v9, v8
	v_pk_mul_f16 v9, 0x3bebba0c, v15
	v_pk_add_f16 v12, v17, v14
	v_pk_add_f16 v14, v49, v28 neg_lo:[0,1] neg_hi:[0,1]
	v_pk_mul_f16 v17, 0x3853b482, v47
	v_pk_add_f16 v10, v11, v10
	v_pk_fma_f16 v15, 0xb08eb93d, v45, v9 neg_lo:[0,0,1] neg_hi:[0,0,1]
	v_pk_fma_f16 v9, 0xb08eb93d, v45, v9
	v_pk_add_f16 v11, v14, v12
	v_pk_add_f16 v12, v50, v29 neg_lo:[0,1] neg_hi:[0,1]
	v_mul_f16_e32 v14, 0xbbeb, v24
	v_pk_add_f16 v8, v15, v8
	v_pk_fma_f16 v15, 0x3abbbbad, v46, v17 neg_lo:[0,0,1] neg_hi:[0,0,1]
	v_pk_add_f16 v9, v9, v10
	v_pk_add_f16 v10, v12, v11
	v_pk_add_f16 v11, v51, v31 neg_lo:[0,1] neg_hi:[0,1]
	v_fma_f16 v12, v27, 0xb08e, -v14
	v_add_f16_e32 v4, v37, v4
	v_fmac_f16_e32 v35, 0x36a6, v30
	v_pk_fma_f16 v17, 0x3abbbbad, v46, v17
	v_pk_add_f16 v15, v15, v8
	v_pk_add_f16 v8, v11, v10
	v_add_f16_e32 v10, v12, v7
	v_add_f16_e32 v4, v35, v4
	v_fmac_f16_e32 v14, 0xb08e, v27
	v_pk_add_f16 v9, v17, v9
	v_mad_u32_u24 v11, v5, 20, v13
	v_perm_b32 v7, v8, v15, 0x7060302
	v_pack_b32_f16 v8, v8, v10
	v_pack_b32_f16 v6, v6, v15
	v_add_f16_e32 v10, v14, v4
	v_alignbit_b32 v4, v9, v9, 16
	ds_store_b96 v11, v[6:8]
	ds_store_b16 v11, v10 offset:12
	ds_store_b64 v11, v[3:4] offset:14
.LBB0_15:
	s_wait_alu 0xfffe
	s_or_b32 exec_lo, exec_lo, s1
	v_and_b32_e32 v4, 0xff, v5
	global_wb scope:SCOPE_SE
	s_wait_dscnt 0x0
	s_barrier_signal -1
	s_barrier_wait -1
	global_inv scope:SCOPE_SE
	v_mul_lo_u16 v4, 0x75, v4
	v_cmp_gt_u32_e64 s0, 0x4d, v5
	s_delay_alu instid0(VALU_DEP_2) | instskip(NEXT) | instid1(VALU_DEP_1)
	v_lshrrev_b16 v4, 8, v4
	v_sub_nc_u16 v6, v5, v4
	s_delay_alu instid0(VALU_DEP_1) | instskip(NEXT) | instid1(VALU_DEP_1)
	v_lshrrev_b16 v6, 1, v6
	v_and_b32_e32 v6, 0x7f, v6
	s_delay_alu instid0(VALU_DEP_1) | instskip(NEXT) | instid1(VALU_DEP_1)
	v_add_nc_u16 v4, v6, v4
	v_lshrrev_b16 v4, 3, v4
	s_delay_alu instid0(VALU_DEP_1) | instskip(SKIP_1) | instid1(VALU_DEP_2)
	v_mul_lo_u16 v6, v4, 11
	v_and_b32_e32 v4, 0xffff, v4
	v_sub_nc_u16 v6, v5, v6
	s_delay_alu instid0(VALU_DEP_2) | instskip(NEXT) | instid1(VALU_DEP_2)
	v_mul_u32_u24_e32 v4, 0x9a, v4
	v_and_b32_e32 v6, 0xff, v6
	s_delay_alu instid0(VALU_DEP_1) | instskip(SKIP_1) | instid1(VALU_DEP_2)
	v_mul_u32_u24_e32 v7, 6, v6
	v_lshlrev_b32_e32 v14, 1, v6
	v_lshlrev_b32_e32 v11, 2, v7
	s_delay_alu instid0(VALU_DEP_2)
	v_add3_u32 v24, 0, v4, v14
	s_clause 0x1
	global_load_b128 v[7:10], v11, s[4:5]
	global_load_b64 v[11:12], v11, s[4:5] offset:16
	ds_load_u16 v28, v13 offset:198
	ds_load_u16 v29, v13 offset:396
	;; [unrolled: 1-line block ×4, first 2 shown]
	ds_load_u16 v6, v13
	ds_load_u16 v32, v13 offset:990
	ds_load_u16 v33, v13 offset:1188
	global_wb scope:SCOPE_SE
	s_wait_loadcnt_dscnt 0x0
	s_barrier_signal -1
	s_barrier_wait -1
	global_inv scope:SCOPE_SE
	v_lshrrev_b32_e32 v4, 16, v7
	v_lshrrev_b32_e32 v17, 16, v8
	;; [unrolled: 1-line block ×6, first 2 shown]
	v_mul_f16_e32 v15, v28, v4
	v_mul_f16_e32 v14, v29, v17
	;; [unrolled: 1-line block ×12, first 2 shown]
	v_fmac_f16_e32 v15, v23, v7
	v_fmac_f16_e32 v14, v22, v8
	;; [unrolled: 1-line block ×4, first 2 shown]
	v_fma_f16 v23, v28, v7, -v4
	v_fma_f16 v22, v29, v8, -v35
	v_fmac_f16_e32 v17, v20, v9
	v_fma_f16 v20, v30, v9, -v36
	v_fmac_f16_e32 v25, v19, v10
	v_fma_f16 v21, v33, v12, -v34
	v_fma_f16 v18, v31, v10, -v37
	;; [unrolled: 1-line block ×3, first 2 shown]
	v_add_f16_e32 v4, v15, v27
	v_add_f16_e32 v7, v14, v26
	v_sub_f16_e32 v8, v23, v21
	v_add_f16_e32 v9, v17, v25
	v_sub_f16_e32 v10, v22, v19
	v_sub_f16_e32 v11, v18, v20
	v_add_f16_e32 v12, v7, v4
	v_sub_f16_e32 v28, v7, v4
	v_sub_f16_e32 v4, v4, v9
	;; [unrolled: 1-line block ×3, first 2 shown]
	v_add_f16_e32 v29, v11, v10
	v_sub_f16_e32 v30, v11, v10
	v_sub_f16_e32 v10, v10, v8
	v_add_f16_e32 v9, v9, v12
	v_sub_f16_e32 v11, v8, v11
	v_add_f16_e32 v8, v29, v8
	v_mul_f16_e32 v12, 0x3a52, v4
	v_mul_f16_e32 v29, 0x2b26, v7
	;; [unrolled: 1-line block ×4, first 2 shown]
	v_add_f16_e32 v4, v16, v9
	v_fmamk_f16 v7, v7, 0x2b26, v12
	v_fma_f16 v16, v28, 0x39e0, -v29
	v_fmamk_f16 v29, v11, 0xb574, v30
	v_fma_f16 v10, v10, 0xbb00, -v30
	v_fma_f16 v11, v11, 0x3574, -v31
	v_fmamk_f16 v9, v9, 0xbcab, v4
	v_fma_f16 v12, v28, 0xb9e0, -v12
	v_fmac_f16_e32 v29, 0xb70e, v8
	v_fmac_f16_e32 v10, 0xb70e, v8
	;; [unrolled: 1-line block ×3, first 2 shown]
	v_add_f16_e32 v28, v7, v9
	v_add_f16_e32 v12, v12, v9
	;; [unrolled: 1-line block ×3, first 2 shown]
	s_delay_alu instid0(VALU_DEP_3) | instskip(NEXT) | instid1(VALU_DEP_3)
	v_add_f16_e32 v7, v29, v28
	v_add_f16_e32 v8, v11, v12
	s_delay_alu instid0(VALU_DEP_3)
	v_sub_f16_e32 v9, v16, v10
	v_add_f16_e32 v10, v10, v16
	v_sub_f16_e32 v12, v12, v11
	v_sub_f16_e32 v11, v28, v29
	ds_store_b16 v24, v4
	ds_store_b16 v24, v7 offset:22
	ds_store_b16 v24, v8 offset:44
	;; [unrolled: 1-line block ×6, first 2 shown]
	global_wb scope:SCOPE_SE
	s_wait_dscnt 0x0
	s_barrier_signal -1
	s_barrier_wait -1
	global_inv scope:SCOPE_SE
	s_and_saveexec_b32 s1, s0
	s_cbranch_execz .LBB0_17
; %bb.16:
	ds_load_u16 v2, v13 offset:1078
	ds_load_u16 v4, v13
	ds_load_u16 v7, v13 offset:154
	ds_load_u16 v8, v13 offset:308
	;; [unrolled: 1-line block ×6, first 2 shown]
	s_wait_dscnt 0x7
	ds_load_u16_d16_hi v2, v13 offset:1232
.LBB0_17:
	s_wait_alu 0xfffe
	s_or_b32 exec_lo, exec_lo, s1
	v_add_f16_e32 v16, v23, v21
	v_add_f16_e32 v19, v22, v19
	v_sub_f16_e32 v15, v15, v27
	v_add_f16_e32 v18, v20, v18
	v_sub_f16_e32 v14, v14, v26
	v_sub_f16_e32 v17, v25, v17
	v_add_f16_e32 v20, v19, v16
	v_sub_f16_e32 v21, v19, v16
	v_sub_f16_e32 v16, v16, v18
	;; [unrolled: 1-line block ×3, first 2 shown]
	v_add_f16_e32 v22, v17, v14
	v_add_f16_e32 v18, v18, v20
	v_sub_f16_e32 v20, v17, v14
	v_sub_f16_e32 v14, v14, v15
	;; [unrolled: 1-line block ×3, first 2 shown]
	v_add_f16_e32 v15, v22, v15
	v_add_f16_e32 v6, v6, v18
	v_mul_f16_e32 v16, 0x3a52, v16
	v_mul_f16_e32 v22, 0x2b26, v19
	;; [unrolled: 1-line block ×4, first 2 shown]
	v_fmamk_f16 v18, v18, 0xbcab, v6
	v_fmamk_f16 v19, v19, 0x2b26, v16
	v_fma_f16 v22, v21, 0x39e0, -v22
	v_fma_f16 v16, v21, 0xb9e0, -v16
	v_fmamk_f16 v21, v17, 0xb574, v20
	v_fma_f16 v20, v14, 0xbb00, -v20
	v_fma_f16 v17, v17, 0x3574, -v23
	v_add_f16_e32 v19, v19, v18
	v_add_f16_e32 v22, v22, v18
	v_add_f16_e32 v23, v16, v18
	v_fmac_f16_e32 v21, 0xb70e, v15
	v_fmac_f16_e32 v17, 0xb70e, v15
	;; [unrolled: 1-line block ×3, first 2 shown]
	global_wb scope:SCOPE_SE
	s_wait_dscnt 0x0
	s_barrier_signal -1
	v_sub_f16_e32 v16, v19, v21
	v_sub_f16_e32 v14, v23, v17
	v_add_f16_e32 v18, v20, v22
	v_sub_f16_e32 v15, v22, v20
	v_add_f16_e32 v17, v17, v23
	v_add_f16_e32 v19, v21, v19
	s_barrier_wait -1
	global_inv scope:SCOPE_SE
	ds_store_b16 v24, v6
	ds_store_b16 v24, v16 offset:22
	ds_store_b16 v24, v14 offset:44
	;; [unrolled: 1-line block ×6, first 2 shown]
	global_wb scope:SCOPE_SE
	s_wait_dscnt 0x0
	s_barrier_signal -1
	s_barrier_wait -1
	global_inv scope:SCOPE_SE
	s_and_saveexec_b32 s1, s0
	s_cbranch_execnz .LBB0_20
; %bb.18:
	s_wait_alu 0xfffe
	s_or_b32 exec_lo, exec_lo, s1
	s_and_b32 s0, vcc_lo, s0
	s_wait_alu 0xfffe
	s_and_saveexec_b32 s1, s0
	s_cbranch_execnz .LBB0_21
.LBB0_19:
	s_endpgm
.LBB0_20:
	ds_load_u16 v3, v13 offset:1078
	ds_load_u16 v6, v13
	ds_load_u16 v16, v13 offset:154
	ds_load_u16 v14, v13 offset:308
	;; [unrolled: 1-line block ×6, first 2 shown]
	s_wait_dscnt 0x7
	ds_load_u16_d16_hi v3, v13 offset:1232
	s_wait_alu 0xfffe
	s_or_b32 exec_lo, exec_lo, s1
	s_and_b32 s0, vcc_lo, s0
	s_wait_alu 0xfffe
	s_and_saveexec_b32 s1, s0
	s_cbranch_execz .LBB0_19
.LBB0_21:
	v_dual_mov_b32 v21, 0 :: v_dual_lshlrev_b32 v20, 3, v5
	v_mad_co_u64_u32 v[28:29], null, s8, v5, 0
	v_add_nc_u32_e32 v47, 0x9a, v5
	v_add_nc_u32_e32 v46, 0x4d, v5
	s_delay_alu instid0(VALU_DEP_4)
	v_lshlrev_b64_e32 v[20:21], 2, v[20:21]
	v_add_nc_u32_e32 v49, 0x134, v5
	v_add_nc_u32_e32 v50, 0x181, v5
	v_mad_co_u64_u32 v[30:31], null, s8, v47, 0
	v_add_nc_u32_e32 v48, 0xe7, v5
	v_add_co_u32 v24, vcc_lo, s4, v20
	s_wait_alu 0xfffd
	v_add_co_ci_u32_e32 v25, vcc_lo, s5, v21, vcc_lo
	v_mov_b32_e32 v13, v29
	v_add_co_u32 v55, vcc_lo, s10, v0
	s_clause 0x1
	global_load_b128 v[20:23], v[24:25], off offset:264
	global_load_b128 v[24:27], v[24:25], off offset:280
	v_add_nc_u32_e32 v51, 0x1ce, v5
	v_add_nc_u32_e32 v57, 0x268, v5
	v_mad_co_u64_u32 v[34:35], null, s8, v49, 0
	v_add_nc_u32_e32 v52, 0x21b, v5
	s_wait_dscnt 0x5
	v_mad_co_u64_u32 v[44:45], null, s9, v5, v[13:14]
	v_mov_b32_e32 v5, v31
	v_mad_co_u64_u32 v[32:33], null, s8, v48, 0
	v_mov_b32_e32 v29, v35
	s_wait_alu 0xfffd
	v_add_co_ci_u32_e32 v56, vcc_lo, s11, v1, vcc_lo
	v_mad_co_u64_u32 v[0:1], null, s8, v46, 0
	v_mad_co_u64_u32 v[38:39], null, s8, v51, 0
	v_mov_b32_e32 v13, v33
	v_mad_co_u64_u32 v[36:37], null, s8, v50, 0
	v_mad_co_u64_u32 v[40:41], null, s8, v52, 0
	;; [unrolled: 1-line block ×6, first 2 shown]
	v_mov_b32_e32 v29, v44
	v_mov_b32_e32 v31, v37
	v_mad_co_u64_u32 v[42:43], null, s8, v57, 0
	v_mov_b32_e32 v1, v45
	v_mov_b32_e32 v33, v39
	v_lshlrev_b64_e32 v[28:29], 2, v[28:29]
	v_mad_co_u64_u32 v[49:50], null, s9, v50, v[31:32]
	v_mov_b32_e32 v31, v46
	v_mov_b32_e32 v35, v41
	v_lshlrev_b64_e32 v[0:1], 2, v[0:1]
	;; [unrolled: 4-line block ×3, first 2 shown]
	v_add_co_u32 v28, vcc_lo, v55, v28
	v_mad_co_u64_u32 v[43:44], null, s9, v52, v[35:36]
	v_mov_b32_e32 v35, v48
	s_wait_alu 0xfffd
	v_add_co_ci_u32_e32 v29, vcc_lo, v56, v29, vcc_lo
	v_lshlrev_b64_e32 v[32:33], 2, v[32:33]
	v_add_co_u32 v0, vcc_lo, v55, v0
	v_mad_co_u64_u32 v[51:52], null, s9, v57, v[37:38]
	v_mov_b32_e32 v37, v49
	s_wait_alu 0xfffd
	v_add_co_ci_u32_e32 v1, vcc_lo, v56, v1, vcc_lo
	v_lshlrev_b64_e32 v[34:35], 2, v[34:35]
	v_add_co_u32 v30, vcc_lo, v55, v30
	v_mov_b32_e32 v39, v50
	s_wait_alu 0xfffd
	v_add_co_ci_u32_e32 v31, vcc_lo, v56, v31, vcc_lo
	v_lshlrev_b64_e32 v[36:37], 2, v[36:37]
	v_add_co_u32 v32, vcc_lo, v55, v32
	;; [unrolled: 5-line block ×4, first 2 shown]
	s_wait_alu 0xfffd
	v_add_co_ci_u32_e32 v37, vcc_lo, v56, v37, vcc_lo
	v_lshlrev_b64_e32 v[42:43], 2, v[42:43]
	v_add_co_u32 v38, vcc_lo, v55, v38
	s_wait_alu 0xfffd
	v_add_co_ci_u32_e32 v39, vcc_lo, v56, v39, vcc_lo
	s_wait_dscnt 0x0
	v_lshrrev_b32_e32 v53, 16, v3
	v_lshrrev_b32_e32 v54, 16, v2
	v_add_co_u32 v40, vcc_lo, v55, v40
	s_wait_alu 0xfffd
	v_add_co_ci_u32_e32 v41, vcc_lo, v56, v41, vcc_lo
	v_add_co_u32 v42, vcc_lo, v55, v42
	s_wait_alu 0xfffd
	v_add_co_ci_u32_e32 v43, vcc_lo, v56, v43, vcc_lo
	s_wait_loadcnt 0x1
	v_lshrrev_b32_e32 v5, 16, v20
	v_lshrrev_b32_e32 v13, 16, v21
	;; [unrolled: 1-line block ×3, first 2 shown]
	s_wait_loadcnt 0x0
	v_lshrrev_b32_e32 v46, 16, v27
	v_lshrrev_b32_e32 v47, 16, v24
	;; [unrolled: 1-line block ×5, first 2 shown]
	v_mul_f16_e32 v50, v7, v5
	v_mul_f16_e32 v51, v54, v46
	;; [unrolled: 1-line block ×16, first 2 shown]
	v_fma_f16 v16, v16, v20, -v50
	v_fma_f16 v50, v53, v27, -v51
	;; [unrolled: 1-line block ×6, first 2 shown]
	v_fmac_f16_e32 v47, v12, v24
	v_fmac_f16_e32 v45, v10, v23
	;; [unrolled: 1-line block ×6, first 2 shown]
	v_fma_f16 v18, v18, v22, -v52
	v_fma_f16 v19, v19, v25, -v55
	v_fmac_f16_e32 v48, v11, v25
	v_fmac_f16_e32 v44, v9, v22
	v_sub_f16_e32 v2, v16, v50
	v_sub_f16_e32 v8, v14, v3
	;; [unrolled: 1-line block ×3, first 2 shown]
	v_add_f16_e32 v11, v13, v49
	v_add_f16_e32 v20, v5, v46
	v_sub_f16_e32 v22, v45, v47
	v_add_f16_e32 v3, v14, v3
	v_add_f16_e32 v16, v16, v50
	v_sub_f16_e32 v7, v18, v19
	v_add_f16_e32 v12, v44, v48
	v_sub_f16_e32 v13, v13, v49
	v_add_f16_e32 v14, v18, v19
	v_mul_f16_e32 v18, 0x3be1, v9
	v_mul_f16_e32 v24, 0x3be1, v22
	v_add_f16_e32 v26, v16, v3
	v_add_f16_e32 v27, v20, v11
	v_sub_f16_e32 v21, v44, v48
	v_fma_f16 v18, v8, 0xb924, -v18
	v_fma_f16 v24, v13, 0xb924, -v24
	v_add_f16_e32 v56, v14, v26
	v_add_f16_e32 v57, v12, v27
	;; [unrolled: 1-line block ×3, first 2 shown]
	v_sub_f16_e32 v5, v5, v46
	v_add_f16_e32 v23, v15, v17
	v_mul_f16_e32 v51, 0xb924, v9
	v_mul_f16_e32 v52, 0xb924, v22
	;; [unrolled: 1-line block ×4, first 2 shown]
	v_fmac_f16_e32 v18, 0x3aee, v7
	v_fmac_f16_e32 v24, 0x3aee, v21
	v_add_f16_e32 v15, v15, v56
	v_add_f16_e32 v45, v45, v57
	;; [unrolled: 1-line block ×4, first 2 shown]
	v_fmac_f16_e32 v51, 0x3be1, v2
	v_fmac_f16_e32 v52, 0x3be1, v5
	;; [unrolled: 1-line block ×6, first 2 shown]
	v_add_f16_e32 v2, v17, v15
	v_add_f16_e32 v5, v47, v45
	v_fmamk_f16 v19, v11, 0x3a21, v4
	v_fmamk_f16 v25, v3, 0x3a21, v6
	;; [unrolled: 1-line block ×4, first 2 shown]
	v_add_f16_e32 v44, v4, v12
	v_add_f16_e32 v49, v6, v14
	;; [unrolled: 1-line block ×4, first 2 shown]
	v_fmac_f16_e32 v4, 0x3a21, v20
	v_fmac_f16_e32 v6, 0x3a21, v16
	;; [unrolled: 1-line block ×8, first 2 shown]
	v_fmac_f16_e32 v19, -0.5, v12
	v_fmac_f16_e32 v25, -0.5, v14
	v_add_f16_e32 v27, v27, v10
	v_add_f16_e32 v26, v26, v23
	v_fmac_f16_e32 v50, -0.5, v12
	v_fmac_f16_e32 v51, 0xbaee, v7
	v_fmac_f16_e32 v52, 0xbaee, v21
	v_fmac_f16_e32 v53, -0.5, v14
	v_fmac_f16_e32 v54, 0x3aee, v7
	v_fmac_f16_e32 v55, 0x3aee, v21
	v_fmac_f16_e32 v4, -0.5, v12
	v_fmac_f16_e32 v6, -0.5, v14
	v_fmac_f16_e32 v19, 0xbb84, v20
	v_fmac_f16_e32 v25, 0xbb84, v16
	v_sub_f16_e32 v46, v46, v8
	v_sub_f16_e32 v48, v48, v13
	v_fmac_f16_e32 v44, -0.5, v27
	v_fmac_f16_e32 v49, -0.5, v26
	v_fmac_f16_e32 v50, 0xbb84, v11
	v_fmac_f16_e32 v51, 0x3579, v8
	;; [unrolled: 1-line block ×8, first 2 shown]
	v_sub_f16_e32 v7, v19, v18
	v_add_f16_e32 v8, v24, v25
	v_mul_f16_e32 v27, 0x3aee, v46
	v_mul_f16_e32 v56, 0x3aee, v48
	v_fmac_f16_e32 v44, 0xbaee, v46
	v_fmac_f16_e32 v49, 0x3aee, v48
	v_sub_f16_e32 v11, v50, v51
	v_add_f16_e32 v13, v52, v53
	v_pack_b32_f16 v2, v5, v2
	v_sub_f16_e32 v4, v4, v54
	v_add_f16_e32 v5, v55, v6
	v_fma_f16 v14, 2.0, v18, v7
	v_fma_f16 v15, -2.0, v24, v8
	v_fma_f16 v9, 2.0, v27, v44
	v_fma_f16 v3, -2.0, v56, v49
	;; [unrolled: 2-line block ×3, first 2 shown]
	global_store_b32 v[28:29], v2, off
	v_pack_b32_f16 v2, v4, v5
	v_fma_f16 v4, 2.0, v54, v4
	v_fma_f16 v5, -2.0, v55, v5
	v_pack_b32_f16 v6, v11, v13
	v_pack_b32_f16 v7, v7, v8
	;; [unrolled: 1-line block ×6, first 2 shown]
	s_clause 0x2
	global_store_b32 v[0:1], v2, off
	global_store_b32 v[30:31], v6, off
	global_store_b32 v[32:33], v12, off
	v_pack_b32_f16 v0, v4, v5
	s_clause 0x4
	global_store_b32 v[34:35], v7, off
	global_store_b32 v[36:37], v8, off
	;; [unrolled: 1-line block ×5, first 2 shown]
	s_nop 0
	s_sendmsg sendmsg(MSG_DEALLOC_VGPRS)
	s_endpgm
	.section	.rodata,"a",@progbits
	.p2align	6, 0x0
	.amdhsa_kernel fft_rtc_back_len693_factors_11_7_9_wgs_99_tpt_99_halfLds_half_ip_CI_sbrr_dirReg
		.amdhsa_group_segment_fixed_size 0
		.amdhsa_private_segment_fixed_size 0
		.amdhsa_kernarg_size 88
		.amdhsa_user_sgpr_count 2
		.amdhsa_user_sgpr_dispatch_ptr 0
		.amdhsa_user_sgpr_queue_ptr 0
		.amdhsa_user_sgpr_kernarg_segment_ptr 1
		.amdhsa_user_sgpr_dispatch_id 0
		.amdhsa_user_sgpr_private_segment_size 0
		.amdhsa_wavefront_size32 1
		.amdhsa_uses_dynamic_stack 0
		.amdhsa_enable_private_segment 0
		.amdhsa_system_sgpr_workgroup_id_x 1
		.amdhsa_system_sgpr_workgroup_id_y 0
		.amdhsa_system_sgpr_workgroup_id_z 0
		.amdhsa_system_sgpr_workgroup_info 0
		.amdhsa_system_vgpr_workitem_id 0
		.amdhsa_next_free_vgpr 60
		.amdhsa_next_free_sgpr 35
		.amdhsa_reserve_vcc 1
		.amdhsa_float_round_mode_32 0
		.amdhsa_float_round_mode_16_64 0
		.amdhsa_float_denorm_mode_32 3
		.amdhsa_float_denorm_mode_16_64 3
		.amdhsa_fp16_overflow 0
		.amdhsa_workgroup_processor_mode 1
		.amdhsa_memory_ordered 1
		.amdhsa_forward_progress 0
		.amdhsa_round_robin_scheduling 0
		.amdhsa_exception_fp_ieee_invalid_op 0
		.amdhsa_exception_fp_denorm_src 0
		.amdhsa_exception_fp_ieee_div_zero 0
		.amdhsa_exception_fp_ieee_overflow 0
		.amdhsa_exception_fp_ieee_underflow 0
		.amdhsa_exception_fp_ieee_inexact 0
		.amdhsa_exception_int_div_zero 0
	.end_amdhsa_kernel
	.text
.Lfunc_end0:
	.size	fft_rtc_back_len693_factors_11_7_9_wgs_99_tpt_99_halfLds_half_ip_CI_sbrr_dirReg, .Lfunc_end0-fft_rtc_back_len693_factors_11_7_9_wgs_99_tpt_99_halfLds_half_ip_CI_sbrr_dirReg
                                        ; -- End function
	.section	.AMDGPU.csdata,"",@progbits
; Kernel info:
; codeLenInByte = 7300
; NumSgprs: 37
; NumVgprs: 60
; ScratchSize: 0
; MemoryBound: 0
; FloatMode: 240
; IeeeMode: 1
; LDSByteSize: 0 bytes/workgroup (compile time only)
; SGPRBlocks: 4
; VGPRBlocks: 7
; NumSGPRsForWavesPerEU: 37
; NumVGPRsForWavesPerEU: 60
; Occupancy: 16
; WaveLimiterHint : 1
; COMPUTE_PGM_RSRC2:SCRATCH_EN: 0
; COMPUTE_PGM_RSRC2:USER_SGPR: 2
; COMPUTE_PGM_RSRC2:TRAP_HANDLER: 0
; COMPUTE_PGM_RSRC2:TGID_X_EN: 1
; COMPUTE_PGM_RSRC2:TGID_Y_EN: 0
; COMPUTE_PGM_RSRC2:TGID_Z_EN: 0
; COMPUTE_PGM_RSRC2:TIDIG_COMP_CNT: 0
	.text
	.p2alignl 7, 3214868480
	.fill 96, 4, 3214868480
	.type	__hip_cuid_4421128faa640cae,@object ; @__hip_cuid_4421128faa640cae
	.section	.bss,"aw",@nobits
	.globl	__hip_cuid_4421128faa640cae
__hip_cuid_4421128faa640cae:
	.byte	0                               ; 0x0
	.size	__hip_cuid_4421128faa640cae, 1

	.ident	"AMD clang version 19.0.0git (https://github.com/RadeonOpenCompute/llvm-project roc-6.4.0 25133 c7fe45cf4b819c5991fe208aaa96edf142730f1d)"
	.section	".note.GNU-stack","",@progbits
	.addrsig
	.addrsig_sym __hip_cuid_4421128faa640cae
	.amdgpu_metadata
---
amdhsa.kernels:
  - .args:
      - .actual_access:  read_only
        .address_space:  global
        .offset:         0
        .size:           8
        .value_kind:     global_buffer
      - .offset:         8
        .size:           8
        .value_kind:     by_value
      - .actual_access:  read_only
        .address_space:  global
        .offset:         16
        .size:           8
        .value_kind:     global_buffer
      - .actual_access:  read_only
        .address_space:  global
        .offset:         24
        .size:           8
        .value_kind:     global_buffer
      - .offset:         32
        .size:           8
        .value_kind:     by_value
      - .actual_access:  read_only
        .address_space:  global
        .offset:         40
        .size:           8
        .value_kind:     global_buffer
      - .actual_access:  read_only
        .address_space:  global
        .offset:         48
        .size:           8
        .value_kind:     global_buffer
      - .offset:         56
        .size:           4
        .value_kind:     by_value
      - .actual_access:  read_only
        .address_space:  global
        .offset:         64
        .size:           8
        .value_kind:     global_buffer
      - .actual_access:  read_only
        .address_space:  global
        .offset:         72
        .size:           8
        .value_kind:     global_buffer
      - .address_space:  global
        .offset:         80
        .size:           8
        .value_kind:     global_buffer
    .group_segment_fixed_size: 0
    .kernarg_segment_align: 8
    .kernarg_segment_size: 88
    .language:       OpenCL C
    .language_version:
      - 2
      - 0
    .max_flat_workgroup_size: 99
    .name:           fft_rtc_back_len693_factors_11_7_9_wgs_99_tpt_99_halfLds_half_ip_CI_sbrr_dirReg
    .private_segment_fixed_size: 0
    .sgpr_count:     37
    .sgpr_spill_count: 0
    .symbol:         fft_rtc_back_len693_factors_11_7_9_wgs_99_tpt_99_halfLds_half_ip_CI_sbrr_dirReg.kd
    .uniform_work_group_size: 1
    .uses_dynamic_stack: false
    .vgpr_count:     60
    .vgpr_spill_count: 0
    .wavefront_size: 32
    .workgroup_processor_mode: 1
amdhsa.target:   amdgcn-amd-amdhsa--gfx1201
amdhsa.version:
  - 1
  - 2
...

	.end_amdgpu_metadata
